;; amdgpu-corpus repo=ROCm/rocFFT kind=compiled arch=gfx1201 opt=O3
	.text
	.amdgcn_target "amdgcn-amd-amdhsa--gfx1201"
	.amdhsa_code_object_version 6
	.protected	fft_rtc_fwd_len1280_factors_16_5_16_wgs_80_tpt_80_halfLds_sp_op_CI_CI_unitstride_sbrr_C2R_dirReg ; -- Begin function fft_rtc_fwd_len1280_factors_16_5_16_wgs_80_tpt_80_halfLds_sp_op_CI_CI_unitstride_sbrr_C2R_dirReg
	.globl	fft_rtc_fwd_len1280_factors_16_5_16_wgs_80_tpt_80_halfLds_sp_op_CI_CI_unitstride_sbrr_C2R_dirReg
	.p2align	8
	.type	fft_rtc_fwd_len1280_factors_16_5_16_wgs_80_tpt_80_halfLds_sp_op_CI_CI_unitstride_sbrr_C2R_dirReg,@function
fft_rtc_fwd_len1280_factors_16_5_16_wgs_80_tpt_80_halfLds_sp_op_CI_CI_unitstride_sbrr_C2R_dirReg: ; @fft_rtc_fwd_len1280_factors_16_5_16_wgs_80_tpt_80_halfLds_sp_op_CI_CI_unitstride_sbrr_C2R_dirReg
; %bb.0:
	s_clause 0x2
	s_load_b128 s[8:11], s[0:1], 0x0
	s_load_b128 s[4:7], s[0:1], 0x58
	;; [unrolled: 1-line block ×3, first 2 shown]
	v_mul_u32_u24_e32 v1, 0x334, v0
	v_mov_b32_e32 v3, 0
	s_delay_alu instid0(VALU_DEP_2) | instskip(NEXT) | instid1(VALU_DEP_1)
	v_lshrrev_b32_e32 v1, 16, v1
	v_add_nc_u32_e32 v5, ttmp9, v1
	v_mov_b32_e32 v1, 0
	v_mov_b32_e32 v2, 0
	;; [unrolled: 1-line block ×3, first 2 shown]
	s_wait_kmcnt 0x0
	v_cmp_lt_u64_e64 s2, s[10:11], 2
	s_delay_alu instid0(VALU_DEP_1)
	s_and_b32 vcc_lo, exec_lo, s2
	s_cbranch_vccnz .LBB0_8
; %bb.1:
	s_load_b64 s[2:3], s[0:1], 0x10
	v_mov_b32_e32 v1, 0
	v_mov_b32_e32 v2, 0
	s_add_nc_u64 s[16:17], s[14:15], 8
	s_add_nc_u64 s[18:19], s[12:13], 8
	s_mov_b64 s[20:21], 1
	s_delay_alu instid0(VALU_DEP_1)
	v_dual_mov_b32 v37, v2 :: v_dual_mov_b32 v36, v1
	s_wait_kmcnt 0x0
	s_add_nc_u64 s[22:23], s[2:3], 8
	s_mov_b32 s3, 0
.LBB0_2:                                ; =>This Inner Loop Header: Depth=1
	s_load_b64 s[24:25], s[22:23], 0x0
                                        ; implicit-def: $vgpr40_vgpr41
	s_mov_b32 s2, exec_lo
	s_wait_kmcnt 0x0
	v_or_b32_e32 v4, s25, v6
	s_delay_alu instid0(VALU_DEP_1)
	v_cmpx_ne_u64_e32 0, v[3:4]
	s_wait_alu 0xfffe
	s_xor_b32 s26, exec_lo, s2
	s_cbranch_execz .LBB0_4
; %bb.3:                                ;   in Loop: Header=BB0_2 Depth=1
	s_cvt_f32_u32 s2, s24
	s_cvt_f32_u32 s27, s25
	s_sub_nc_u64 s[30:31], 0, s[24:25]
	s_wait_alu 0xfffe
	s_delay_alu instid0(SALU_CYCLE_1) | instskip(SKIP_1) | instid1(SALU_CYCLE_2)
	s_fmamk_f32 s2, s27, 0x4f800000, s2
	s_wait_alu 0xfffe
	v_s_rcp_f32 s2, s2
	s_delay_alu instid0(TRANS32_DEP_1) | instskip(SKIP_1) | instid1(SALU_CYCLE_2)
	s_mul_f32 s2, s2, 0x5f7ffffc
	s_wait_alu 0xfffe
	s_mul_f32 s27, s2, 0x2f800000
	s_wait_alu 0xfffe
	s_delay_alu instid0(SALU_CYCLE_2) | instskip(SKIP_1) | instid1(SALU_CYCLE_2)
	s_trunc_f32 s27, s27
	s_wait_alu 0xfffe
	s_fmamk_f32 s2, s27, 0xcf800000, s2
	s_cvt_u32_f32 s29, s27
	s_wait_alu 0xfffe
	s_delay_alu instid0(SALU_CYCLE_1) | instskip(SKIP_1) | instid1(SALU_CYCLE_2)
	s_cvt_u32_f32 s28, s2
	s_wait_alu 0xfffe
	s_mul_u64 s[34:35], s[30:31], s[28:29]
	s_wait_alu 0xfffe
	s_mul_hi_u32 s37, s28, s35
	s_mul_i32 s36, s28, s35
	s_mul_hi_u32 s2, s28, s34
	s_mul_i32 s33, s29, s34
	s_wait_alu 0xfffe
	s_add_nc_u64 s[36:37], s[2:3], s[36:37]
	s_mul_hi_u32 s27, s29, s34
	s_mul_hi_u32 s38, s29, s35
	s_add_co_u32 s2, s36, s33
	s_wait_alu 0xfffe
	s_add_co_ci_u32 s2, s37, s27
	s_mul_i32 s34, s29, s35
	s_add_co_ci_u32 s35, s38, 0
	s_wait_alu 0xfffe
	s_add_nc_u64 s[34:35], s[2:3], s[34:35]
	s_wait_alu 0xfffe
	v_add_co_u32 v4, s2, s28, s34
	s_delay_alu instid0(VALU_DEP_1) | instskip(SKIP_1) | instid1(VALU_DEP_1)
	s_cmp_lg_u32 s2, 0
	s_add_co_ci_u32 s29, s29, s35
	v_readfirstlane_b32 s28, v4
	s_wait_alu 0xfffe
	s_delay_alu instid0(VALU_DEP_1)
	s_mul_u64 s[30:31], s[30:31], s[28:29]
	s_wait_alu 0xfffe
	s_mul_hi_u32 s35, s28, s31
	s_mul_i32 s34, s28, s31
	s_mul_hi_u32 s2, s28, s30
	s_mul_i32 s33, s29, s30
	s_wait_alu 0xfffe
	s_add_nc_u64 s[34:35], s[2:3], s[34:35]
	s_mul_hi_u32 s27, s29, s30
	s_mul_hi_u32 s28, s29, s31
	s_wait_alu 0xfffe
	s_add_co_u32 s2, s34, s33
	s_add_co_ci_u32 s2, s35, s27
	s_mul_i32 s30, s29, s31
	s_add_co_ci_u32 s31, s28, 0
	s_wait_alu 0xfffe
	s_add_nc_u64 s[30:31], s[2:3], s[30:31]
	s_wait_alu 0xfffe
	v_add_co_u32 v4, s2, v4, s30
	s_delay_alu instid0(VALU_DEP_1) | instskip(SKIP_1) | instid1(VALU_DEP_1)
	s_cmp_lg_u32 s2, 0
	s_add_co_ci_u32 s2, s29, s31
	v_mul_hi_u32 v13, v5, v4
	s_wait_alu 0xfffe
	v_mad_co_u64_u32 v[7:8], null, v5, s2, 0
	v_mad_co_u64_u32 v[9:10], null, v6, v4, 0
	;; [unrolled: 1-line block ×3, first 2 shown]
	s_delay_alu instid0(VALU_DEP_3) | instskip(SKIP_1) | instid1(VALU_DEP_4)
	v_add_co_u32 v4, vcc_lo, v13, v7
	s_wait_alu 0xfffd
	v_add_co_ci_u32_e32 v7, vcc_lo, 0, v8, vcc_lo
	s_delay_alu instid0(VALU_DEP_2) | instskip(SKIP_1) | instid1(VALU_DEP_2)
	v_add_co_u32 v4, vcc_lo, v4, v9
	s_wait_alu 0xfffd
	v_add_co_ci_u32_e32 v4, vcc_lo, v7, v10, vcc_lo
	s_wait_alu 0xfffd
	v_add_co_ci_u32_e32 v7, vcc_lo, 0, v12, vcc_lo
	s_delay_alu instid0(VALU_DEP_2) | instskip(SKIP_1) | instid1(VALU_DEP_2)
	v_add_co_u32 v4, vcc_lo, v4, v11
	s_wait_alu 0xfffd
	v_add_co_ci_u32_e32 v9, vcc_lo, 0, v7, vcc_lo
	s_delay_alu instid0(VALU_DEP_2) | instskip(SKIP_1) | instid1(VALU_DEP_3)
	v_mul_lo_u32 v10, s25, v4
	v_mad_co_u64_u32 v[7:8], null, s24, v4, 0
	v_mul_lo_u32 v11, s24, v9
	s_delay_alu instid0(VALU_DEP_2) | instskip(NEXT) | instid1(VALU_DEP_2)
	v_sub_co_u32 v7, vcc_lo, v5, v7
	v_add3_u32 v8, v8, v11, v10
	s_delay_alu instid0(VALU_DEP_1) | instskip(SKIP_1) | instid1(VALU_DEP_1)
	v_sub_nc_u32_e32 v10, v6, v8
	s_wait_alu 0xfffd
	v_subrev_co_ci_u32_e64 v10, s2, s25, v10, vcc_lo
	v_add_co_u32 v11, s2, v4, 2
	s_wait_alu 0xf1ff
	v_add_co_ci_u32_e64 v12, s2, 0, v9, s2
	v_sub_co_u32 v13, s2, v7, s24
	v_sub_co_ci_u32_e32 v8, vcc_lo, v6, v8, vcc_lo
	s_wait_alu 0xf1ff
	v_subrev_co_ci_u32_e64 v10, s2, 0, v10, s2
	s_delay_alu instid0(VALU_DEP_3) | instskip(NEXT) | instid1(VALU_DEP_3)
	v_cmp_le_u32_e32 vcc_lo, s24, v13
	v_cmp_eq_u32_e64 s2, s25, v8
	s_wait_alu 0xfffd
	v_cndmask_b32_e64 v13, 0, -1, vcc_lo
	v_cmp_le_u32_e32 vcc_lo, s25, v10
	s_wait_alu 0xfffd
	v_cndmask_b32_e64 v14, 0, -1, vcc_lo
	v_cmp_le_u32_e32 vcc_lo, s24, v7
	;; [unrolled: 3-line block ×3, first 2 shown]
	s_wait_alu 0xfffd
	v_cndmask_b32_e64 v15, 0, -1, vcc_lo
	v_cmp_eq_u32_e32 vcc_lo, s25, v10
	s_wait_alu 0xf1ff
	s_delay_alu instid0(VALU_DEP_2)
	v_cndmask_b32_e64 v7, v15, v7, s2
	s_wait_alu 0xfffd
	v_cndmask_b32_e32 v10, v14, v13, vcc_lo
	v_add_co_u32 v13, vcc_lo, v4, 1
	s_wait_alu 0xfffd
	v_add_co_ci_u32_e32 v14, vcc_lo, 0, v9, vcc_lo
	s_delay_alu instid0(VALU_DEP_3) | instskip(SKIP_1) | instid1(VALU_DEP_2)
	v_cmp_ne_u32_e32 vcc_lo, 0, v10
	s_wait_alu 0xfffd
	v_cndmask_b32_e32 v8, v14, v12, vcc_lo
	v_cndmask_b32_e32 v10, v13, v11, vcc_lo
	v_cmp_ne_u32_e32 vcc_lo, 0, v7
	s_wait_alu 0xfffd
	s_delay_alu instid0(VALU_DEP_2)
	v_dual_cndmask_b32 v41, v9, v8 :: v_dual_cndmask_b32 v40, v4, v10
.LBB0_4:                                ;   in Loop: Header=BB0_2 Depth=1
	s_wait_alu 0xfffe
	s_and_not1_saveexec_b32 s2, s26
	s_cbranch_execz .LBB0_6
; %bb.5:                                ;   in Loop: Header=BB0_2 Depth=1
	v_cvt_f32_u32_e32 v4, s24
	s_sub_co_i32 s26, 0, s24
	v_mov_b32_e32 v41, v3
	s_delay_alu instid0(VALU_DEP_2) | instskip(NEXT) | instid1(TRANS32_DEP_1)
	v_rcp_iflag_f32_e32 v4, v4
	v_mul_f32_e32 v4, 0x4f7ffffe, v4
	s_delay_alu instid0(VALU_DEP_1) | instskip(SKIP_1) | instid1(VALU_DEP_1)
	v_cvt_u32_f32_e32 v4, v4
	s_wait_alu 0xfffe
	v_mul_lo_u32 v7, s26, v4
	s_delay_alu instid0(VALU_DEP_1) | instskip(NEXT) | instid1(VALU_DEP_1)
	v_mul_hi_u32 v7, v4, v7
	v_add_nc_u32_e32 v4, v4, v7
	s_delay_alu instid0(VALU_DEP_1) | instskip(NEXT) | instid1(VALU_DEP_1)
	v_mul_hi_u32 v4, v5, v4
	v_mul_lo_u32 v7, v4, s24
	v_add_nc_u32_e32 v8, 1, v4
	s_delay_alu instid0(VALU_DEP_2) | instskip(NEXT) | instid1(VALU_DEP_1)
	v_sub_nc_u32_e32 v7, v5, v7
	v_subrev_nc_u32_e32 v9, s24, v7
	v_cmp_le_u32_e32 vcc_lo, s24, v7
	s_wait_alu 0xfffd
	s_delay_alu instid0(VALU_DEP_2) | instskip(NEXT) | instid1(VALU_DEP_1)
	v_dual_cndmask_b32 v7, v7, v9 :: v_dual_cndmask_b32 v4, v4, v8
	v_cmp_le_u32_e32 vcc_lo, s24, v7
	s_delay_alu instid0(VALU_DEP_2) | instskip(SKIP_1) | instid1(VALU_DEP_1)
	v_add_nc_u32_e32 v8, 1, v4
	s_wait_alu 0xfffd
	v_cndmask_b32_e32 v40, v4, v8, vcc_lo
.LBB0_6:                                ;   in Loop: Header=BB0_2 Depth=1
	s_wait_alu 0xfffe
	s_or_b32 exec_lo, exec_lo, s2
	v_mul_lo_u32 v4, v41, s24
	s_delay_alu instid0(VALU_DEP_2)
	v_mul_lo_u32 v9, v40, s25
	s_load_b64 s[26:27], s[18:19], 0x0
	v_mad_co_u64_u32 v[7:8], null, v40, s24, 0
	s_load_b64 s[24:25], s[16:17], 0x0
	s_add_nc_u64 s[20:21], s[20:21], 1
	s_add_nc_u64 s[16:17], s[16:17], 8
	s_wait_alu 0xfffe
	v_cmp_ge_u64_e64 s2, s[20:21], s[10:11]
	s_add_nc_u64 s[18:19], s[18:19], 8
	s_add_nc_u64 s[22:23], s[22:23], 8
	v_add3_u32 v4, v8, v9, v4
	v_sub_co_u32 v5, vcc_lo, v5, v7
	s_wait_alu 0xfffd
	s_delay_alu instid0(VALU_DEP_2) | instskip(SKIP_2) | instid1(VALU_DEP_1)
	v_sub_co_ci_u32_e32 v4, vcc_lo, v6, v4, vcc_lo
	s_and_b32 vcc_lo, exec_lo, s2
	s_wait_kmcnt 0x0
	v_mul_lo_u32 v6, s26, v4
	v_mul_lo_u32 v7, s27, v5
	v_mad_co_u64_u32 v[1:2], null, s26, v5, v[1:2]
	v_mul_lo_u32 v4, s24, v4
	v_mul_lo_u32 v8, s25, v5
	v_mad_co_u64_u32 v[36:37], null, s24, v5, v[36:37]
	s_delay_alu instid0(VALU_DEP_4) | instskip(NEXT) | instid1(VALU_DEP_2)
	v_add3_u32 v2, v7, v2, v6
	v_add3_u32 v37, v8, v37, v4
	s_wait_alu 0xfffe
	s_cbranch_vccnz .LBB0_9
; %bb.7:                                ;   in Loop: Header=BB0_2 Depth=1
	v_dual_mov_b32 v5, v40 :: v_dual_mov_b32 v6, v41
	s_branch .LBB0_2
.LBB0_8:
	v_dual_mov_b32 v37, v2 :: v_dual_mov_b32 v36, v1
	v_dual_mov_b32 v41, v6 :: v_dual_mov_b32 v40, v5
.LBB0_9:
	s_load_b64 s[0:1], s[0:1], 0x28
	v_mul_hi_u32 v3, 0x3333334, v0
	s_lshl_b64 s[10:11], s[10:11], 3
                                        ; implicit-def: $vgpr38
	s_wait_alu 0xfffe
	s_add_nc_u64 s[2:3], s[14:15], s[10:11]
	s_wait_kmcnt 0x0
	v_cmp_gt_u64_e32 vcc_lo, s[0:1], v[40:41]
	v_cmp_le_u64_e64 s0, s[0:1], v[40:41]
	s_delay_alu instid0(VALU_DEP_1)
	s_and_saveexec_b32 s1, s0
	s_wait_alu 0xfffe
	s_xor_b32 s0, exec_lo, s1
; %bb.10:
	v_mul_u32_u24_e32 v1, 0x50, v3
                                        ; implicit-def: $vgpr3
	s_delay_alu instid0(VALU_DEP_1)
	v_sub_nc_u32_e32 v38, v0, v1
                                        ; implicit-def: $vgpr0
                                        ; implicit-def: $vgpr1_vgpr2
; %bb.11:
	s_wait_alu 0xfffe
	s_or_saveexec_b32 s1, s0
	s_load_b64 s[2:3], s[2:3], 0x0
	s_xor_b32 exec_lo, exec_lo, s1
	s_cbranch_execz .LBB0_15
; %bb.12:
	s_add_nc_u64 s[10:11], s[12:13], s[10:11]
	v_lshlrev_b64_e32 v[1:2], 3, v[1:2]
	s_load_b64 s[10:11], s[10:11], 0x0
	s_wait_kmcnt 0x0
	v_mul_lo_u32 v6, s11, v40
	v_mul_lo_u32 v7, s10, v41
	v_mad_co_u64_u32 v[4:5], null, s10, v40, 0
	s_delay_alu instid0(VALU_DEP_1) | instskip(SKIP_1) | instid1(VALU_DEP_2)
	v_add3_u32 v5, v5, v7, v6
	v_mul_u32_u24_e32 v6, 0x50, v3
	v_lshlrev_b64_e32 v[3:4], 3, v[4:5]
	s_delay_alu instid0(VALU_DEP_2) | instskip(NEXT) | instid1(VALU_DEP_1)
	v_sub_nc_u32_e32 v38, v0, v6
	v_lshlrev_b32_e32 v34, 3, v38
	s_delay_alu instid0(VALU_DEP_3) | instskip(SKIP_1) | instid1(VALU_DEP_4)
	v_add_co_u32 v0, s0, s4, v3
	s_wait_alu 0xf1ff
	v_add_co_ci_u32_e64 v3, s0, s5, v4, s0
	s_mov_b32 s4, exec_lo
	s_delay_alu instid0(VALU_DEP_2) | instskip(SKIP_1) | instid1(VALU_DEP_2)
	v_add_co_u32 v0, s0, v0, v1
	s_wait_alu 0xf1ff
	v_add_co_ci_u32_e64 v1, s0, v3, v2, s0
	s_delay_alu instid0(VALU_DEP_2) | instskip(SKIP_1) | instid1(VALU_DEP_2)
	v_add_co_u32 v2, s0, v0, v34
	s_wait_alu 0xf1ff
	v_add_co_ci_u32_e64 v3, s0, 0, v1, s0
	s_clause 0xf
	global_load_b64 v[4:5], v[2:3], off
	global_load_b64 v[6:7], v[2:3], off offset:640
	global_load_b64 v[8:9], v[2:3], off offset:1280
	;; [unrolled: 1-line block ×15, first 2 shown]
	v_add_nc_u32_e32 v34, 0, v34
	s_delay_alu instid0(VALU_DEP_1)
	v_add_nc_u32_e32 v35, 0x800, v34
	v_add_nc_u32_e32 v39, 0xc00, v34
	;; [unrolled: 1-line block ×6, first 2 shown]
	s_wait_loadcnt 0xe
	ds_store_2addr_b64 v34, v[4:5], v[6:7] offset1:80
	s_wait_loadcnt 0xc
	ds_store_2addr_b64 v34, v[8:9], v[10:11] offset0:160 offset1:240
	s_wait_loadcnt 0xa
	ds_store_2addr_b64 v35, v[12:13], v[14:15] offset0:64 offset1:144
	;; [unrolled: 2-line block ×7, first 2 shown]
	v_cmpx_eq_u32_e32 0x4f, v38
	s_cbranch_execz .LBB0_14
; %bb.13:
	global_load_b64 v[0:1], v[0:1], off offset:10240
	v_mov_b32_e32 v2, 0
	v_mov_b32_e32 v38, 0x4f
	s_wait_loadcnt 0x0
	ds_store_b64 v2, v[0:1] offset:10240
.LBB0_14:
	s_wait_alu 0xfffe
	s_or_b32 exec_lo, exec_lo, s4
.LBB0_15:
	s_delay_alu instid0(SALU_CYCLE_1)
	s_or_b32 exec_lo, exec_lo, s1
	v_lshlrev_b32_e32 v0, 3, v38
	global_wb scope:SCOPE_SE
	s_wait_dscnt 0x0
	s_wait_kmcnt 0x0
	s_barrier_signal -1
	s_barrier_wait -1
	global_inv scope:SCOPE_SE
	v_add_nc_u32_e32 v60, 0, v0
	v_sub_nc_u32_e32 v4, 0, v0
	s_mov_b32 s1, exec_lo
                                        ; implicit-def: $vgpr2_vgpr3
	ds_load_b32 v5, v60
	ds_load_b32 v6, v4 offset:10240
	s_wait_dscnt 0x0
	v_dual_sub_f32 v1, v5, v6 :: v_dual_add_f32 v0, v6, v5
	v_cmpx_ne_u32_e32 0, v38
	s_wait_alu 0xfffe
	s_xor_b32 s1, exec_lo, s1
	s_cbranch_execz .LBB0_17
; %bb.16:
	v_dual_mov_b32 v39, 0 :: v_dual_sub_f32 v8, v5, v6
	s_delay_alu instid0(VALU_DEP_1) | instskip(NEXT) | instid1(VALU_DEP_1)
	v_lshlrev_b64_e32 v[0:1], 3, v[38:39]
	v_add_co_u32 v0, s0, s8, v0
	s_wait_alu 0xf1ff
	s_delay_alu instid0(VALU_DEP_2)
	v_add_co_ci_u32_e64 v1, s0, s9, v1, s0
	global_load_b64 v[2:3], v[0:1], off offset:10112
	ds_load_b32 v0, v4 offset:10244
	ds_load_b32 v1, v60 offset:4
	v_add_f32_e32 v7, v6, v5
	s_wait_dscnt 0x0
	v_dual_add_f32 v9, v0, v1 :: v_dual_sub_f32 v0, v1, v0
	s_wait_loadcnt 0x0
	s_delay_alu instid0(VALU_DEP_2) | instskip(NEXT) | instid1(VALU_DEP_2)
	v_fma_f32 v5, -v8, v3, v7
	v_fma_f32 v6, v9, v3, -v0
	v_fma_f32 v10, v8, v3, v7
	v_fma_f32 v1, v9, v3, v0
	s_delay_alu instid0(VALU_DEP_3) | instskip(NEXT) | instid1(VALU_DEP_3)
	v_dual_fmac_f32 v5, v2, v9 :: v_dual_fmac_f32 v6, v8, v2
	v_fma_f32 v0, -v2, v9, v10
	s_delay_alu instid0(VALU_DEP_3)
	v_dual_fmac_f32 v1, v8, v2 :: v_dual_mov_b32 v2, v38
	v_mov_b32_e32 v3, v39
	ds_store_b64 v4, v[5:6] offset:10240
.LBB0_17:
	s_wait_alu 0xfffe
	s_and_not1_saveexec_b32 s0, s1
	s_cbranch_execz .LBB0_19
; %bb.18:
	v_mov_b32_e32 v7, 0
	ds_load_b64 v[2:3], v7 offset:5120
	s_wait_dscnt 0x0
	v_dual_mul_f32 v6, -2.0, v3 :: v_dual_add_f32 v5, v2, v2
	v_mov_b32_e32 v2, 0
	v_mov_b32_e32 v3, 0
	ds_store_b64 v7, v[5:6] offset:5120
.LBB0_19:
	s_wait_alu 0xfffe
	s_or_b32 exec_lo, exec_lo, s0
	v_lshlrev_b64_e32 v[2:3], 3, v[2:3]
	s_add_nc_u64 s[0:1], s[8:9], 0x2780
	v_add_nc_u32_e32 v39, 0x1800, v60
	v_add_nc_u32_e32 v35, 0x2000, v60
	;; [unrolled: 1-line block ×4, first 2 shown]
	s_wait_alu 0xfffe
	v_add_co_u32 v2, s0, s0, v2
	s_wait_alu 0xf1ff
	v_add_co_ci_u32_e64 v3, s0, s1, v3, s0
	s_clause 0x6
	global_load_b64 v[5:6], v[2:3], off offset:640
	global_load_b64 v[7:8], v[2:3], off offset:1280
	global_load_b64 v[9:10], v[2:3], off offset:1920
	global_load_b64 v[11:12], v[2:3], off offset:2560
	global_load_b64 v[13:14], v[2:3], off offset:3200
	global_load_b64 v[15:16], v[2:3], off offset:3840
	global_load_b64 v[2:3], v[2:3], off offset:4480
	ds_store_b64 v60, v[0:1]
	ds_load_b64 v[0:1], v60 offset:640
	ds_load_b64 v[17:18], v4 offset:9600
	v_cmp_gt_u32_e64 s0, 16, v38
	v_add_nc_u32_e32 v33, 0x800, v60
	v_add_nc_u32_e32 v25, 0xc00, v60
	s_wait_dscnt 0x0
	v_add_f32_e32 v19, v0, v17
	v_add_f32_e32 v20, v18, v1
	v_dual_sub_f32 v21, v0, v17 :: v_dual_sub_f32 v0, v1, v18
	s_wait_loadcnt 0x6
	s_delay_alu instid0(VALU_DEP_1) | instskip(NEXT) | instid1(VALU_DEP_2)
	v_fma_f32 v22, v21, v6, v19
	v_fma_f32 v1, v20, v6, v0
	v_fma_f32 v17, -v21, v6, v19
	v_fma_f32 v18, v20, v6, -v0
	s_delay_alu instid0(VALU_DEP_4) | instskip(NEXT) | instid1(VALU_DEP_4)
	v_fma_f32 v0, -v5, v20, v22
	v_fmac_f32_e32 v1, v21, v5
	s_delay_alu instid0(VALU_DEP_4) | instskip(NEXT) | instid1(VALU_DEP_4)
	v_fmac_f32_e32 v17, v5, v20
	v_fmac_f32_e32 v18, v21, v5
	ds_store_b64 v60, v[0:1] offset:640
	ds_store_b64 v4, v[17:18] offset:9600
	ds_load_b64 v[0:1], v60 offset:1280
	ds_load_b64 v[5:6], v4 offset:8960
	s_wait_dscnt 0x0
	v_add_f32_e32 v17, v0, v5
	v_add_f32_e32 v18, v6, v1
	v_dual_sub_f32 v19, v0, v5 :: v_dual_sub_f32 v0, v1, v6
	s_wait_loadcnt 0x5
	s_delay_alu instid0(VALU_DEP_1) | instskip(NEXT) | instid1(VALU_DEP_2)
	v_fma_f32 v20, v19, v8, v17
	v_fma_f32 v1, v18, v8, v0
	v_fma_f32 v5, -v19, v8, v17
	v_fma_f32 v6, v18, v8, -v0
	s_delay_alu instid0(VALU_DEP_4) | instskip(NEXT) | instid1(VALU_DEP_4)
	v_fma_f32 v0, -v7, v18, v20
	v_fmac_f32_e32 v1, v19, v7
	s_delay_alu instid0(VALU_DEP_4) | instskip(NEXT) | instid1(VALU_DEP_4)
	v_fmac_f32_e32 v5, v7, v18
	v_fmac_f32_e32 v6, v19, v7
	ds_store_b64 v60, v[0:1] offset:1280
	ds_store_b64 v4, v[5:6] offset:8960
	ds_load_b64 v[0:1], v60 offset:1920
	ds_load_b64 v[5:6], v4 offset:8320
	;; [unrolled: 20-line block ×3, first 2 shown]
	s_wait_dscnt 0x0
	v_add_f32_e32 v7, v0, v5
	v_add_f32_e32 v8, v6, v1
	v_dual_sub_f32 v9, v0, v5 :: v_dual_sub_f32 v0, v1, v6
	s_wait_loadcnt 0x3
	s_delay_alu instid0(VALU_DEP_1) | instskip(NEXT) | instid1(VALU_DEP_2)
	v_fma_f32 v10, v9, v12, v7
	v_fma_f32 v1, v8, v12, v0
	v_fma_f32 v5, -v9, v12, v7
	v_fma_f32 v6, v8, v12, -v0
	s_delay_alu instid0(VALU_DEP_4) | instskip(NEXT) | instid1(VALU_DEP_4)
	v_fma_f32 v0, -v11, v8, v10
	v_fmac_f32_e32 v1, v9, v11
	s_delay_alu instid0(VALU_DEP_3)
	v_dual_fmac_f32 v5, v11, v8 :: v_dual_fmac_f32 v6, v9, v11
	ds_store_b64 v60, v[0:1] offset:2560
	ds_store_b64 v4, v[5:6] offset:7680
	ds_load_b64 v[0:1], v60 offset:3200
	ds_load_b64 v[5:6], v4 offset:7040
	s_wait_dscnt 0x0
	v_add_f32_e32 v7, v0, v5
	v_add_f32_e32 v8, v6, v1
	v_dual_sub_f32 v9, v0, v5 :: v_dual_sub_f32 v0, v1, v6
	s_wait_loadcnt 0x2
	s_delay_alu instid0(VALU_DEP_1) | instskip(NEXT) | instid1(VALU_DEP_2)
	v_fma_f32 v10, v9, v14, v7
	v_fma_f32 v1, v8, v14, v0
	v_fma_f32 v5, -v9, v14, v7
	v_fma_f32 v6, v8, v14, -v0
	s_delay_alu instid0(VALU_DEP_4) | instskip(NEXT) | instid1(VALU_DEP_4)
	v_fma_f32 v0, -v13, v8, v10
	v_fmac_f32_e32 v1, v9, v13
	s_delay_alu instid0(VALU_DEP_4) | instskip(NEXT) | instid1(VALU_DEP_4)
	v_fmac_f32_e32 v5, v13, v8
	v_fmac_f32_e32 v6, v9, v13
	ds_store_b64 v60, v[0:1] offset:3200
	ds_store_b64 v4, v[5:6] offset:7040
	ds_load_b64 v[0:1], v60 offset:3840
	ds_load_b64 v[5:6], v4 offset:6400
	v_add_nc_u32_e32 v13, 0x1c00, v60
	s_wait_dscnt 0x0
	v_add_f32_e32 v7, v0, v5
	v_add_f32_e32 v8, v6, v1
	v_dual_sub_f32 v9, v0, v5 :: v_dual_sub_f32 v0, v1, v6
	s_wait_loadcnt 0x1
	s_delay_alu instid0(VALU_DEP_1) | instskip(NEXT) | instid1(VALU_DEP_2)
	v_fma_f32 v10, v9, v16, v7
	v_fma_f32 v1, v8, v16, v0
	v_fma_f32 v5, -v9, v16, v7
	v_fma_f32 v6, v8, v16, -v0
	s_delay_alu instid0(VALU_DEP_4) | instskip(NEXT) | instid1(VALU_DEP_4)
	v_fma_f32 v0, -v15, v8, v10
	v_fmac_f32_e32 v1, v9, v15
	s_delay_alu instid0(VALU_DEP_3)
	v_dual_fmac_f32 v5, v15, v8 :: v_dual_fmac_f32 v6, v9, v15
	ds_store_b64 v60, v[0:1] offset:3840
	ds_store_b64 v4, v[5:6] offset:6400
	ds_load_b64 v[0:1], v60 offset:4480
	ds_load_b64 v[5:6], v4 offset:5760
	s_wait_dscnt 0x0
	v_add_f32_e32 v7, v0, v5
	v_add_f32_e32 v8, v6, v1
	v_dual_sub_f32 v9, v0, v5 :: v_dual_sub_f32 v0, v1, v6
	s_wait_loadcnt 0x0
	s_delay_alu instid0(VALU_DEP_1) | instskip(NEXT) | instid1(VALU_DEP_2)
	v_fma_f32 v10, v9, v3, v7
	v_fma_f32 v1, v8, v3, v0
	v_fma_f32 v5, -v9, v3, v7
	v_fma_f32 v6, v8, v3, -v0
	s_delay_alu instid0(VALU_DEP_4) | instskip(NEXT) | instid1(VALU_DEP_4)
	v_fma_f32 v0, -v2, v8, v10
	v_fmac_f32_e32 v1, v9, v2
	s_delay_alu instid0(VALU_DEP_3)
	v_dual_fmac_f32 v5, v2, v8 :: v_dual_fmac_f32 v6, v9, v2
	ds_store_b64 v60, v[0:1] offset:4480
	ds_store_b64 v4, v[5:6] offset:5760
	global_wb scope:SCOPE_SE
	s_wait_dscnt 0x0
	s_barrier_signal -1
	s_barrier_wait -1
	global_inv scope:SCOPE_SE
	global_wb scope:SCOPE_SE
	s_barrier_signal -1
	s_barrier_wait -1
	global_inv scope:SCOPE_SE
	ds_load_2addr_b64 v[1:4], v60 offset1:80
	ds_load_2addr_b64 v[5:8], v34 offset0:128 offset1:208
	ds_load_2addr_b64 v[9:12], v33 offset0:64 offset1:144
	;; [unrolled: 1-line block ×7, first 2 shown]
	v_mad_u32_u24 v0, 0x78, v38, v60
	global_wb scope:SCOPE_SE
	s_wait_dscnt 0x0
	s_barrier_signal -1
	s_barrier_wait -1
	global_inv scope:SCOPE_SE
	v_dual_sub_f32 v5, v1, v5 :: v_dual_sub_f32 v8, v4, v8
	v_sub_f32_e32 v16, v12, v16
	v_dual_sub_f32 v14, v10, v14 :: v_dual_sub_f32 v21, v17, v21
	v_dual_sub_f32 v13, v9, v13 :: v_dual_sub_f32 v24, v20, v24
	v_sub_f32_e32 v30, v26, v30
	v_fma_f32 v4, v4, 2.0, -v8
	v_fma_f32 v12, v12, 2.0, -v16
	v_dual_sub_f32 v22, v18, v22 :: v_dual_sub_f32 v7, v3, v7
	v_sub_f32_e32 v32, v28, v32
	v_fma_f32 v10, v10, 2.0, -v14
	s_delay_alu instid0(VALU_DEP_4) | instskip(NEXT) | instid1(VALU_DEP_4)
	v_dual_sub_f32 v12, v4, v12 :: v_dual_sub_f32 v29, v25, v29
	v_sub_f32_e32 v16, v7, v16
	v_fma_f32 v26, v26, 2.0, -v30
	v_sub_f32_e32 v14, v5, v14
	v_sub_f32_e32 v30, v21, v30
	v_dual_sub_f32 v6, v2, v6 :: v_dual_sub_f32 v23, v19, v23
	v_fma_f32 v1, v1, 2.0, -v5
	v_fma_f32 v17, v17, 2.0, -v21
	s_delay_alu instid0(VALU_DEP_4)
	v_fmamk_f32 v46, v30, 0x3f3504f3, v14
	v_fma_f32 v25, v25, 2.0, -v29
	v_fma_f32 v20, v20, 2.0, -v24
	;; [unrolled: 1-line block ×3, first 2 shown]
	v_sub_f32_e32 v15, v11, v15
	v_fma_f32 v5, v5, 2.0, -v14
	v_fma_f32 v21, v21, 2.0, -v30
	v_add_f32_e32 v29, v22, v29
	v_fma_f32 v2, v2, 2.0, -v6
	v_fma_f32 v9, v9, 2.0, -v13
	;; [unrolled: 1-line block ×3, first 2 shown]
	v_fmamk_f32 v52, v21, 0xbf3504f3, v5
	v_fma_f32 v3, v3, 2.0, -v7
	v_dual_add_f32 v13, v6, v13 :: v_dual_sub_f32 v32, v23, v32
	v_sub_f32_e32 v31, v27, v31
	v_fma_f32 v22, v22, 2.0, -v29
	v_sub_f32_e32 v28, v20, v28
	v_fma_f32 v11, v11, 2.0, -v15
	v_fmamk_f32 v48, v32, 0x3f3504f3, v16
	v_fma_f32 v27, v27, 2.0, -v31
	v_dual_add_f32 v15, v8, v15 :: v_dual_fmac_f32 v46, 0xbf3504f3, v29
	v_sub_f32_e32 v10, v2, v10
	v_dual_sub_f32 v26, v18, v26 :: v_dual_sub_f32 v11, v3, v11
	v_dual_fmac_f32 v52, 0xbf3504f3, v22 :: v_dual_add_f32 v31, v24, v31
	v_fma_f32 v19, v19, 2.0, -v23
	s_delay_alu instid0(VALU_DEP_4) | instskip(NEXT) | instid1(VALU_DEP_4)
	v_fma_f32 v51, v2, 2.0, -v10
	v_fma_f32 v2, v18, 2.0, -v26
	;; [unrolled: 1-line block ×3, first 2 shown]
	v_dual_sub_f32 v28, v11, v28 :: v_dual_sub_f32 v25, v17, v25
	v_fmac_f32_e32 v48, 0xbf3504f3, v31
	v_fmamk_f32 v49, v31, 0x3f3504f3, v15
	v_fma_f32 v8, v8, 2.0, -v15
	v_fma_f32 v24, v24, 2.0, -v31
	v_sub_f32_e32 v9, v1, v9
	v_fma_f32 v4, v4, 2.0, -v12
	v_dual_sub_f32 v27, v19, v27 :: v_dual_add_f32 v20, v10, v25
	v_fmac_f32_e32 v49, 0x3f3504f3, v32
	v_fma_f32 v6, v6, 2.0, -v13
	v_fma_f32 v23, v23, 2.0, -v32
	v_fma_f32 v50, v1, 2.0, -v9
	v_fma_f32 v1, v17, 2.0, -v25
	v_fma_f32 v32, v10, 2.0, -v20
	v_sub_f32_e32 v10, v4, v18
	v_fma_f32 v17, v19, 2.0, -v27
	v_fma_f32 v15, v15, 2.0, -v49
	v_add_f32_e32 v27, v12, v27
	v_dual_sub_f32 v19, v9, v26 :: v_dual_fmamk_f32 v26, v24, 0xbf3504f3, v8
	v_fmamk_f32 v47, v29, 0x3f3504f3, v13
	v_add_nc_u32_e32 v45, 0x1400, v60
	v_fmamk_f32 v53, v22, 0xbf3504f3, v6
	v_fma_f32 v7, v7, 2.0, -v16
	s_delay_alu instid0(VALU_DEP_4) | instskip(SKIP_4) | instid1(VALU_DEP_4)
	v_dual_fmac_f32 v26, 0x3f3504f3, v23 :: v_dual_fmac_f32 v47, 0x3f3504f3, v30
	v_sub_f32_e32 v30, v51, v2
	v_fmamk_f32 v2, v27, 0x3f3504f3, v20
	v_fma_f32 v3, v3, 2.0, -v11
	v_dual_sub_f32 v29, v50, v1 :: v_dual_fmamk_f32 v42, v48, 0x3f6c835e, v46
	v_fma_f32 v22, v51, 2.0, -v30
	s_delay_alu instid0(VALU_DEP_4) | instskip(SKIP_3) | instid1(VALU_DEP_4)
	v_dual_fmac_f32 v53, 0x3f3504f3, v21 :: v_dual_fmac_f32 v2, 0x3f3504f3, v28
	v_fma_f32 v55, v13, 2.0, -v47
	v_fma_f32 v31, v9, 2.0, -v19
	;; [unrolled: 1-line block ×5, first 2 shown]
	v_fmamk_f32 v6, v15, 0xbec3ef15, v55
	v_fma_f32 v18, v12, 2.0, -v27
	v_fmamk_f32 v25, v23, 0xbf3504f3, v7
	v_fma_f32 v12, v4, 2.0, -v10
	v_fma_f32 v21, v50, 2.0, -v29
	v_fma_f32 v50, v5, 2.0, -v52
	s_delay_alu instid0(VALU_DEP_4) | instskip(NEXT) | instid1(VALU_DEP_4)
	v_dual_fmamk_f32 v4, v18, 0xbf3504f3, v32 :: v_dual_fmac_f32 v25, 0xbf3504f3, v24
	v_dual_sub_f32 v12, v22, v12 :: v_dual_sub_f32 v9, v3, v17
	v_fma_f32 v17, v11, 2.0, -v28
	v_fma_f32 v24, v8, 2.0, -v26
	s_delay_alu instid0(VALU_DEP_4)
	v_fma_f32 v23, v7, 2.0, -v25
	v_fmamk_f32 v1, v28, 0x3f3504f3, v19
	v_fmamk_f32 v5, v16, 0xbec3ef15, v54
	v_dual_fmac_f32 v4, 0x3f3504f3, v17 :: v_dual_sub_f32 v7, v29, v10
	v_fmac_f32_e32 v42, 0xbec3ef15, v49
	v_fmamk_f32 v10, v26, 0x3ec3ef15, v53
	v_fma_f32 v11, v3, 2.0, -v9
	v_dual_add_f32 v8, v30, v9 :: v_dual_fmamk_f32 v9, v25, 0x3ec3ef15, v52
	v_dual_fmamk_f32 v43, v49, 0x3f6c835e, v47 :: v_dual_fmac_f32 v6, 0x3f6c835e, v16
	v_fmamk_f32 v3, v17, 0xbf3504f3, v31
	s_delay_alu instid0(VALU_DEP_4)
	v_dual_sub_f32 v11, v21, v11 :: v_dual_fmamk_f32 v14, v24, 0xbf6c835e, v51
	v_fmamk_f32 v13, v23, 0xbf6c835e, v50
	v_fmac_f32_e32 v9, 0xbf6c835e, v26
	v_fmac_f32_e32 v10, 0x3f6c835e, v25
	v_fmac_f32_e32 v1, 0xbf3504f3, v27
	v_dual_fmac_f32 v43, 0x3ec3ef15, v48 :: v_dual_fmac_f32 v14, 0x3ec3ef15, v23
	v_fmac_f32_e32 v3, 0xbf3504f3, v18
	v_fmac_f32_e32 v5, 0xbf6c835e, v15
	;; [unrolled: 1-line block ×3, first 2 shown]
	v_fma_f32 v15, v29, 2.0, -v7
	v_fma_f32 v16, v30, 2.0, -v8
	;; [unrolled: 1-line block ×14, first 2 shown]
	ds_store_2addr_b64 v0, v[7:8], v[9:10] offset0:12 offset1:13
	ds_store_2addr_b64 v0, v[1:2], v[42:43] offset0:14 offset1:15
	v_fma_f32 v1, v50, 2.0, -v13
	v_fma_f32 v2, v51, 2.0, -v14
	ds_store_2addr_b64 v0, v[15:16], v[27:28] offset0:4 offset1:5
	ds_store_2addr_b64 v0, v[17:18], v[19:20] offset0:6 offset1:7
	;; [unrolled: 1-line block ×4, first 2 shown]
	ds_store_2addr_b64 v0, v[21:22], v[1:2] offset1:1
	ds_store_2addr_b64 v0, v[23:24], v[25:26] offset0:2 offset1:3
	global_wb scope:SCOPE_SE
	s_wait_dscnt 0x0
	s_barrier_signal -1
	s_barrier_wait -1
	global_inv scope:SCOPE_SE
	ds_load_2addr_b64 v[12:15], v60 offset1:80
	ds_load_2addr_b64 v[8:11], v44 offset0:32 offset1:128
	ds_load_2addr_b64 v[20:23], v34 offset1:80
	ds_load_2addr_b64 v[16:19], v45 offset0:32 offset1:128
	;; [unrolled: 2-line block ×3, first 2 shown]
	ds_load_2addr_b64 v[24:27], v39 offset0:80 offset1:160
	ds_load_b64 v[58:59], v60 offset:9472
                                        ; implicit-def: $vgpr3
                                        ; implicit-def: $vgpr7
	s_and_saveexec_b32 s1, s0
	s_cbranch_execz .LBB0_21
; %bb.20:
	v_mad_i32_i24 v0, 0xffffff88, v38, v0
	s_delay_alu instid0(VALU_DEP_1)
	v_add_nc_u32_e32 v0, 0x180, v0
	ds_load_b64 v[42:43], v60 offset:1920
	ds_load_2addr_stride64_b64 v[4:7], v0 offset0:7 offset1:11
	ds_load_2addr_stride64_b64 v[0:3], v0 offset0:15 offset1:19
.LBB0_21:
	s_wait_alu 0xfffe
	s_or_b32 exec_lo, exec_lo, s1
	v_lshlrev_b32_e32 v39, 5, v38
	v_lshrrev_b32_e32 v65, 4, v38
	s_delay_alu instid0(VALU_DEP_2) | instskip(NEXT) | instid1(VALU_DEP_2)
	v_and_b32_e32 v39, 0x1e0, v39
	v_mul_u32_u24_e32 v65, 0x50, v65
	s_clause 0x3
	global_load_b64 v[44:45], v39, s[8:9]
	global_load_b64 v[50:51], v39, s[8:9] offset:8
	global_load_b64 v[48:49], v39, s[8:9] offset:16
	;; [unrolled: 1-line block ×3, first 2 shown]
	v_add_nc_u32_e32 v63, 0x50, v38
	v_add_nc_u32_e32 v64, 0xa0, v38
	s_wait_loadcnt_dscnt 0x302
	v_dual_mul_f32 v74, v45, v32 :: v_dual_and_b32 v61, 15, v38
	s_delay_alu instid0(VALU_DEP_3)
	v_lshrrev_b32_e32 v63, 4, v63
	s_wait_loadcnt 0x2
	v_mul_f32_e32 v67, v51, v21
	s_wait_loadcnt 0x0
	v_mul_f32_e32 v72, v47, v28
	v_lshrrev_b32_e32 v64, 4, v64
	v_or_b32_e32 v65, v65, v61
	v_mul_u32_u24_e32 v63, 0x50, v63
	v_lshlrev_b32_e32 v54, 5, v61
	v_mul_f32_e32 v66, v45, v10
	v_mul_u32_u24_e32 v64, 0x50, v64
	v_mul_f32_e32 v68, v51, v20
	v_or_b32_e32 v63, v63, v61
	v_dual_mul_f32 v69, v49, v19 :: v_dual_mul_f32 v76, v51, v22
	s_delay_alu instid0(VALU_DEP_4)
	v_or_b32_e32 v61, v64, v61
	v_lshl_add_u32 v64, v65, 3, 0
	v_mul_f32_e32 v65, v45, v11
	s_clause 0x3
	global_load_b64 v[52:53], v39, s[8:9] offset:4
	global_load_b32 v62, v54, s[8:9]
	global_load_b64 v[54:55], v39, s[8:9] offset:20
	global_load_b64 v[56:57], v39, s[8:9] offset:12
	v_dual_mul_f32 v70, v49, v18 :: v_dual_mul_f32 v71, v47, v29
	v_dual_mul_f32 v73, v45, v33 :: v_dual_mul_f32 v80, v47, v30
	s_wait_dscnt 0x1
	v_dual_mul_f32 v75, v51, v23 :: v_dual_mul_f32 v78, v49, v24
	s_wait_dscnt 0x0
	v_dual_mul_f32 v77, v49, v25 :: v_dual_mul_f32 v84, v59, v47
	v_mul_f32_e32 v79, v47, v31
	v_dual_mul_f32 v81, v45, v35 :: v_dual_mul_f32 v82, v51, v17
	v_mul_f32_e32 v51, v51, v16
	v_mul_f32_e32 v45, v45, v34
	;; [unrolled: 1-line block ×5, first 2 shown]
	v_lshl_add_u32 v63, v63, 3, 0
	global_wb scope:SCOPE_SE
	s_wait_loadcnt 0x0
	s_barrier_signal -1
	s_barrier_wait -1
	global_inv scope:SCOPE_SE
	v_lshl_add_u32 v61, v61, 3, 0
	v_fmac_f32_e32 v68, v53, v21
	v_fma_f32 v10, v62, v10, -v65
	v_fmac_f32_e32 v72, v55, v29
	v_fmac_f32_e32 v66, v62, v11
	v_fma_f32 v11, v53, v20, -v67
	v_fma_f32 v20, v57, v18, -v69
	v_fmac_f32_e32 v70, v57, v19
	v_fma_f32 v65, v55, v28, -v71
	v_fma_f32 v18, v62, v32, -v73
	v_dual_fmac_f32 v74, v62, v33 :: v_dual_fmac_f32 v47, v59, v55
	v_fma_f32 v19, v53, v22, -v75
	v_fmac_f32_e32 v76, v53, v23
	v_fma_f32 v24, v57, v24, -v77
	v_dual_fmac_f32 v78, v57, v25 :: v_dual_fmac_f32 v45, v62, v35
	v_fma_f32 v67, v55, v30, -v79
	v_fmac_f32_e32 v80, v55, v31
	v_fma_f32 v22, v53, v16, -v82
	v_dual_fmac_f32 v51, v53, v17 :: v_dual_add_f32 v16, v12, v10
	v_fma_f32 v21, v62, v34, -v81
	v_fma_f32 v28, v26, v57, -v83
	v_dual_fmac_f32 v49, v27, v57 :: v_dual_sub_f32 v34, v68, v70
	v_fma_f32 v53, v58, v55, -v84
	v_dual_add_f32 v17, v11, v20 :: v_dual_add_f32 v26, v10, v65
	v_dual_sub_f32 v33, v66, v72 :: v_dual_add_f32 v30, v13, v66
	v_dual_sub_f32 v23, v10, v11 :: v_dual_add_f32 v84, v76, v78
	v_sub_f32_e32 v25, v65, v20
	v_dual_sub_f32 v27, v11, v10 :: v_dual_sub_f32 v32, v66, v68
	v_dual_sub_f32 v29, v20, v65 :: v_dual_add_f32 v58, v66, v72
	v_dual_add_f32 v31, v68, v70 :: v_dual_sub_f32 v62, v70, v72
	v_dual_sub_f32 v35, v10, v65 :: v_dual_sub_f32 v82, v24, v67
	v_dual_sub_f32 v57, v72, v70 :: v_dual_sub_f32 v86, v19, v24
	v_sub_f32_e32 v59, v68, v66
	v_dual_add_f32 v66, v14, v18 :: v_dual_add_f32 v69, v19, v24
	v_dual_add_f32 v90, v8, v21 :: v_dual_sub_f32 v75, v18, v19
	v_dual_sub_f32 v94, v21, v22 :: v_dual_add_f32 v79, v18, v67
	v_add_f32_e32 v100, v23, v25
	v_dual_sub_f32 v81, v19, v18 :: v_dual_add_f32 v98, v16, v11
	v_sub_f32_e32 v85, v18, v67
	v_dual_sub_f32 v18, v74, v76 :: v_dual_sub_f32 v87, v80, v78
	v_sub_f32_e32 v55, v11, v20
	v_dual_sub_f32 v71, v74, v80 :: v_dual_sub_f32 v92, v45, v47
	v_dual_sub_f32 v73, v76, v78 :: v_dual_add_f32 v88, v74, v80
	v_dual_sub_f32 v77, v67, v24 :: v_dual_add_f32 v96, v21, v53
	v_dual_add_f32 v83, v15, v74 :: v_dual_sub_f32 v102, v21, v53
	v_dual_sub_f32 v74, v76, v74 :: v_dual_sub_f32 v89, v78, v80
	v_add_f32_e32 v91, v22, v28
	v_sub_f32_e32 v93, v51, v49
	v_fma_f32 v10, -0.5, v17, v12
	v_sub_f32_e32 v97, v22, v21
	v_add_f32_e32 v21, v30, v68
	v_fma_f32 v11, -0.5, v31, v13
	v_sub_f32_e32 v68, v22, v28
	v_sub_f32_e32 v95, v53, v28
	v_fma_f32 v12, -0.5, v26, v12
	v_dual_add_f32 v103, v32, v57 :: v_dual_sub_f32 v26, v45, v51
	v_add_f32_e32 v101, v27, v29
	v_sub_f32_e32 v27, v47, v49
	v_add_f32_e32 v29, v66, v19
	v_fma_f32 v16, -0.5, v69, v14
	v_fma_f32 v14, -0.5, v79, v14
	v_dual_sub_f32 v31, v51, v45 :: v_dual_sub_f32 v32, v49, v47
	v_dual_add_f32 v66, v18, v87 :: v_dual_add_f32 v23, v9, v45
	v_sub_f32_e32 v99, v28, v53
	v_add_f32_e32 v25, v51, v49
	v_fma_f32 v13, -0.5, v58, v13
	v_dual_add_f32 v30, v45, v47 :: v_dual_add_f32 v57, v83, v76
	v_dual_add_f32 v58, v90, v22 :: v_dual_add_f32 v45, v75, v77
	v_fma_f32 v18, -0.5, v91, v8
	v_add_f32_e32 v69, v74, v89
	v_add_f32_e32 v74, v94, v95
	v_fma_f32 v8, -0.5, v96, v8
	v_dual_add_f32 v51, v23, v51 :: v_dual_fmamk_f32 v22, v34, 0xbf737871, v12
	v_fmac_f32_e32 v12, 0x3f737871, v34
	v_add_f32_e32 v76, v26, v27
	v_dual_fmamk_f32 v26, v73, 0xbf737871, v14 :: v_dual_add_f32 v77, v31, v32
	v_add_f32_e32 v32, v98, v20
	v_fmamk_f32 v20, v33, 0x3f737871, v10
	v_fmac_f32_e32 v10, 0xbf737871, v33
	v_fma_f32 v17, -0.5, v84, v15
	v_fmac_f32_e32 v15, -0.5, v88
	v_fma_f32 v19, -0.5, v25, v9
	v_fmac_f32_e32 v9, -0.5, v30
	v_dual_add_f32 v70, v21, v70 :: v_dual_fmamk_f32 v23, v55, 0x3f737871, v13
	v_fmac_f32_e32 v13, 0xbf737871, v55
	v_dual_fmac_f32 v14, 0x3f737871, v73 :: v_dual_add_f32 v57, v57, v78
	v_fmac_f32_e32 v22, 0x3f167918, v33
	v_add_f32_e32 v58, v58, v28
	v_dual_fmamk_f32 v30, v93, 0xbf737871, v8 :: v_dual_add_f32 v49, v51, v49
	v_fmac_f32_e32 v10, 0xbf167918, v34
	v_fmamk_f32 v21, v35, 0xbf737871, v11
	v_fmac_f32_e32 v11, 0x3f737871, v35
	v_add_f32_e32 v59, v59, v62
	v_add_f32_e32 v62, v81, v82
	v_dual_add_f32 v79, v29, v24 :: v_dual_fmac_f32 v20, 0x3f167918, v34
	v_fmamk_f32 v24, v71, 0x3f737871, v16
	v_dual_fmac_f32 v16, 0xbf737871, v71 :: v_dual_fmamk_f32 v25, v85, 0xbf737871, v17
	s_delay_alu instid0(VALU_DEP_3)
	v_dual_add_f32 v34, v79, v67 :: v_dual_fmamk_f32 v27, v86, 0x3f737871, v15
	v_fmac_f32_e32 v15, 0xbf737871, v86
	v_add_f32_e32 v75, v97, v99
	v_dual_fmac_f32 v17, 0x3f737871, v85 :: v_dual_fmamk_f32 v28, v92, 0x3f737871, v18
	v_fmac_f32_e32 v18, 0xbf737871, v92
	v_fmac_f32_e32 v8, 0x3f737871, v93
	v_fmamk_f32 v29, v102, 0xbf737871, v19
	v_fmac_f32_e32 v19, 0x3f737871, v102
	v_fmamk_f32 v31, v68, 0x3f737871, v9
	v_fmac_f32_e32 v9, 0xbf737871, v68
	v_dual_fmac_f32 v23, 0xbf167918, v35 :: v_dual_fmac_f32 v18, 0xbf167918, v93
	v_dual_fmac_f32 v13, 0x3f167918, v35 :: v_dual_fmac_f32 v28, 0x3f167918, v93
	v_dual_fmac_f32 v26, 0x3f167918, v71 :: v_dual_add_f32 v35, v57, v80
	v_dual_add_f32 v57, v58, v53 :: v_dual_fmac_f32 v20, 0x3e9e377a, v100
	v_add_f32_e32 v58, v49, v47
	v_dual_fmac_f32 v21, 0xbf167918, v55 :: v_dual_fmac_f32 v16, 0xbf167918, v73
	v_dual_fmac_f32 v12, 0xbf167918, v33 :: v_dual_add_f32 v33, v70, v72
	v_dual_fmac_f32 v11, 0x3f167918, v55 :: v_dual_fmac_f32 v24, 0x3f167918, v73
	v_dual_fmac_f32 v14, 0xbf167918, v71 :: v_dual_fmac_f32 v25, 0xbf167918, v86
	;; [unrolled: 1-line block ×3, first 2 shown]
	v_fmac_f32_e32 v15, 0x3f167918, v85
	v_dual_add_f32 v32, v32, v65 :: v_dual_fmac_f32 v17, 0x3f167918, v86
	v_fmac_f32_e32 v30, 0x3f167918, v92
	v_fmac_f32_e32 v29, 0xbf167918, v68
	;; [unrolled: 1-line block ×5, first 2 shown]
	v_dual_fmac_f32 v10, 0x3e9e377a, v100 :: v_dual_fmac_f32 v21, 0x3e9e377a, v103
	v_dual_fmac_f32 v22, 0x3e9e377a, v101 :: v_dual_fmac_f32 v11, 0x3e9e377a, v103
	;; [unrolled: 1-line block ×11, first 2 shown]
	v_fmac_f32_e32 v9, 0x3e9e377a, v77
	ds_store_2addr_b64 v64, v[32:33], v[20:21] offset1:16
	ds_store_2addr_b64 v64, v[22:23], v[12:13] offset0:32 offset1:48
	ds_store_b64 v64, v[10:11] offset:512
	ds_store_2addr_b64 v63, v[34:35], v[24:25] offset1:16
	ds_store_2addr_b64 v63, v[26:27], v[14:15] offset0:32 offset1:48
	ds_store_b64 v63, v[16:17] offset:512
	;; [unrolled: 3-line block ×3, first 2 shown]
	s_and_saveexec_b32 s1, s0
	s_cbranch_execz .LBB0_23
; %bb.22:
	v_add_co_u32 v8, s0, s8, v39
	s_wait_alu 0xf1ff
	v_add_co_ci_u32_e64 v9, null, s9, 0, s0
	v_dual_mul_f32 v10, v4, v52 :: v_dual_mul_f32 v13, v1, v54
	s_delay_alu instid0(VALU_DEP_3) | instskip(SKIP_1) | instid1(VALU_DEP_3)
	v_add_co_u32 v8, s0, v8, 24
	s_wait_alu 0xf1ff
	v_add_co_ci_u32_e64 v9, s0, 0, v9, s0
	v_dual_mul_f32 v11, v0, v54 :: v_dual_mul_f32 v12, v7, v56
	v_mul_f32_e32 v14, v5, v52
	global_load_b32 v8, v[8:9], off offset:4
	v_fmac_f32_e32 v10, v5, v44
	v_fma_f32 v5, v6, v50, -v12
	v_fma_f32 v4, v4, v44, -v14
	v_mul_f32_e32 v9, v6, v56
	v_fma_f32 v6, v0, v48, -v13
	s_delay_alu instid0(VALU_DEP_3) | instskip(NEXT) | instid1(VALU_DEP_3)
	v_dual_add_f32 v15, v43, v10 :: v_dual_sub_f32 v18, v4, v5
	v_fmac_f32_e32 v9, v7, v50
	v_fmac_f32_e32 v11, v1, v48
	s_delay_alu instid0(VALU_DEP_4) | instskip(SKIP_1) | instid1(VALU_DEP_3)
	v_dual_sub_f32 v13, v5, v6 :: v_dual_add_nc_u32 v12, 0x2000, v60
	v_add_f32_e32 v20, v42, v4
	v_dual_sub_f32 v14, v10, v9 :: v_dual_sub_f32 v17, v9, v11
	v_add_f32_e32 v0, v9, v11
	v_sub_f32_e32 v7, v9, v10
	v_dual_sub_f32 v16, v5, v4 :: v_dual_add_f32 v9, v15, v9
	s_delay_alu instid0(VALU_DEP_3) | instskip(SKIP_3) | instid1(VALU_DEP_1)
	v_fma_f32 v1, -0.5, v0, v43
	s_wait_loadcnt 0x0
	v_mul_f32_e32 v21, v2, v8
	v_mul_f32_e32 v8, v3, v8
	v_fma_f32 v2, v2, v46, -v8
	s_delay_alu instid0(VALU_DEP_1)
	v_sub_f32_e32 v15, v4, v2
	v_add_f32_e32 v4, v4, v2
	v_fmac_f32_e32 v21, v3, v46
	v_add_f32_e32 v19, v5, v6
	v_add_f32_e32 v5, v20, v5
	;; [unrolled: 1-line block ×3, first 2 shown]
	v_fma_f32 v4, -0.5, v4, v42
	v_sub_f32_e32 v8, v11, v21
	v_fma_f32 v0, -0.5, v19, v42
	v_sub_f32_e32 v11, v21, v11
	v_sub_f32_e32 v19, v6, v2
	s_delay_alu instid0(VALU_DEP_4) | instskip(SKIP_1) | instid1(VALU_DEP_4)
	v_dual_add_f32 v5, v5, v6 :: v_dual_add_f32 v20, v7, v8
	v_sub_f32_e32 v6, v2, v6
	v_dual_add_f32 v11, v14, v11 :: v_dual_fmamk_f32 v8, v17, 0x3f737871, v4
	s_delay_alu instid0(VALU_DEP_4) | instskip(NEXT) | instid1(VALU_DEP_4)
	v_dual_add_f32 v14, v16, v19 :: v_dual_add_f32 v9, v10, v21
	v_add_f32_e32 v2, v5, v2
	v_sub_f32_e32 v10, v10, v21
	v_dual_add_f32 v3, v3, v21 :: v_dual_add_f32 v16, v18, v6
	s_delay_alu instid0(VALU_DEP_4) | instskip(SKIP_1) | instid1(VALU_DEP_4)
	v_fma_f32 v5, -0.5, v9, v43
	v_fmac_f32_e32 v4, 0xbf737871, v17
	v_fmamk_f32 v6, v10, 0xbf737871, v0
	v_fmamk_f32 v7, v15, 0x3f737871, v1
	v_fmac_f32_e32 v1, 0xbf737871, v15
	v_fmac_f32_e32 v0, 0x3f737871, v10
	v_fmamk_f32 v9, v13, 0xbf737871, v5
	v_fmac_f32_e32 v5, 0x3f737871, v13
	v_dual_fmac_f32 v7, 0x3f167918, v13 :: v_dual_fmac_f32 v4, 0x3f167918, v10
	v_dual_fmac_f32 v1, 0xbf167918, v13 :: v_dual_fmac_f32 v8, 0xbf167918, v10
	s_delay_alu instid0(VALU_DEP_4) | instskip(NEXT) | instid1(VALU_DEP_4)
	v_dual_fmac_f32 v0, 0x3f167918, v17 :: v_dual_fmac_f32 v9, 0x3f167918, v15
	v_dual_fmac_f32 v6, 0xbf167918, v17 :: v_dual_fmac_f32 v5, 0xbf167918, v15
	s_delay_alu instid0(VALU_DEP_2) | instskip(NEXT) | instid1(VALU_DEP_4)
	v_dual_fmac_f32 v7, 0x3e9e377a, v11 :: v_dual_fmac_f32 v0, 0x3e9e377a, v16
	v_dual_fmac_f32 v1, 0x3e9e377a, v11 :: v_dual_fmac_f32 v8, 0x3e9e377a, v14
	s_delay_alu instid0(VALU_DEP_4) | instskip(NEXT) | instid1(VALU_DEP_4)
	v_dual_fmac_f32 v9, 0x3e9e377a, v20 :: v_dual_fmac_f32 v4, 0x3e9e377a, v14
	v_fmac_f32_e32 v5, 0x3e9e377a, v20
	v_fmac_f32_e32 v6, 0x3e9e377a, v16
	ds_store_2addr_b64 v12, v[2:3], v[0:1] offset0:176 offset1:192
	ds_store_2addr_b64 v12, v[4:5], v[8:9] offset0:208 offset1:224
	ds_store_b64 v60, v[6:7] offset:10112
.LBB0_23:
	s_wait_alu 0xfffe
	s_or_b32 exec_lo, exec_lo, s1
	v_mul_u32_u24_e32 v0, 15, v38
	global_wb scope:SCOPE_SE
	s_wait_dscnt 0x0
	s_barrier_signal -1
	s_barrier_wait -1
	global_inv scope:SCOPE_SE
	v_lshlrev_b32_e32 v28, 3, v0
	s_clause 0x7
	global_load_b128 v[0:3], v28, s[8:9] offset:512
	global_load_b128 v[4:7], v28, s[8:9] offset:528
	;; [unrolled: 1-line block ×7, first 2 shown]
	global_load_b64 v[58:59], v28, s[8:9] offset:624
	ds_load_2addr_b64 v[28:31], v60 offset1:80
	v_add_nc_u32_e32 v39, 0x800, v60
	ds_load_2addr_b64 v[32:35], v60 offset0:160 offset1:240
	v_add_nc_u32_e32 v69, 0xc00, v60
	v_add_nc_u32_e32 v70, 0x1000, v60
	;; [unrolled: 1-line block ×3, first 2 shown]
	s_wait_loadcnt_dscnt 0x701
	v_dual_mul_f32 v74, v1, v31 :: v_dual_add_nc_u32 v73, 0x2000, v60
	ds_load_2addr_b64 v[42:45], v39 offset0:64 offset1:144
	v_add_nc_u32_e32 v71, 0x1800, v60
	s_wait_loadcnt_dscnt 0x601
	v_dual_mul_f32 v75, v3, v33 :: v_dual_mul_f32 v76, v5, v35
	v_mul_f32_e32 v5, v5, v34
	v_mul_f32_e32 v1, v1, v30
	v_fma_f32 v30, v0, v30, -v74
	s_delay_alu instid0(VALU_DEP_3) | instskip(NEXT) | instid1(VALU_DEP_3)
	v_fmac_f32_e32 v5, v4, v35
	v_fmac_f32_e32 v1, v0, v31
	v_fma_f32 v0, v2, v32, -v75
	s_wait_loadcnt_dscnt 0x500
	v_mul_f32_e32 v78, v45, v9
	ds_load_2addr_b64 v[46:49], v69 offset0:96 offset1:176
	ds_load_2addr_b64 v[50:53], v70 offset0:128 offset1:208
	;; [unrolled: 1-line block ×5, first 2 shown]
	v_mul_f32_e32 v3, v3, v32
	v_mul_f32_e32 v77, v7, v43
	;; [unrolled: 1-line block ×4, first 2 shown]
	global_wb scope:SCOPE_SE
	s_wait_loadcnt_dscnt 0x0
	s_barrier_signal -1
	s_barrier_wait -1
	global_inv scope:SCOPE_SE
	v_fmac_f32_e32 v9, v45, v8
	v_mul_f32_e32 v79, v47, v11
	v_dual_mul_f32 v81, v51, v15 :: v_dual_mul_f32 v82, v53, v17
	v_mul_f32_e32 v84, v57, v21
	v_mul_f32_e32 v86, v64, v25
	v_fmac_f32_e32 v3, v2, v33
	v_fma_f32 v2, v4, v34, -v76
	v_fma_f32 v4, v6, v42, -v77
	v_fmac_f32_e32 v7, v6, v43
	v_fma_f32 v6, v44, v8, -v78
	v_fma_f32 v8, v46, v10, -v79
	v_mul_f32_e32 v15, v50, v15
	v_dual_mul_f32 v11, v46, v11 :: v_dual_mul_f32 v80, v49, v13
	v_mul_f32_e32 v13, v48, v13
	v_dual_mul_f32 v25, v63, v25 :: v_dual_mul_f32 v88, v68, v59
	s_delay_alu instid0(VALU_DEP_4)
	v_fmac_f32_e32 v15, v51, v14
	v_mul_f32_e32 v17, v52, v17
	v_fmac_f32_e32 v11, v47, v10
	v_fma_f32 v10, v48, v12, -v80
	v_mul_f32_e32 v83, v55, v19
	v_fmac_f32_e32 v13, v49, v12
	v_fma_f32 v12, v50, v14, -v81
	v_fma_f32 v14, v52, v16, -v82
	v_fmac_f32_e32 v25, v64, v24
	v_sub_f32_e32 v15, v29, v15
	v_mul_f32_e32 v19, v54, v19
	s_delay_alu instid0(VALU_DEP_4) | instskip(NEXT) | instid1(VALU_DEP_4)
	v_dual_fmac_f32 v17, v53, v16 :: v_dual_sub_f32 v14, v30, v14
	v_sub_f32_e32 v25, v9, v25
	v_fma_f32 v16, v54, v18, -v83
	s_delay_alu instid0(VALU_DEP_4)
	v_fmac_f32_e32 v19, v55, v18
	v_fma_f32 v18, v56, v20, -v84
	v_sub_f32_e32 v12, v28, v12
	v_fma_f32 v9, v9, 2.0, -v25
	v_sub_f32_e32 v25, v14, v25
	v_sub_f32_e32 v19, v3, v19
	v_mul_f32_e32 v21, v56, v21
	v_sub_f32_e32 v17, v1, v17
	v_mul_f32_e32 v85, v62, v23
	v_fma_f32 v28, v28, 2.0, -v12
	v_sub_f32_e32 v16, v0, v16
	v_dual_fmac_f32 v21, v57, v20 :: v_dual_sub_f32 v18, v2, v18
	s_delay_alu instid0(VALU_DEP_4) | instskip(SKIP_1) | instid1(VALU_DEP_4)
	v_fma_f32 v20, v61, v22, -v85
	v_fma_f32 v30, v30, 2.0, -v14
	v_fma_f32 v0, v0, 2.0, -v16
	s_delay_alu instid0(VALU_DEP_4) | instskip(NEXT) | instid1(VALU_DEP_4)
	v_sub_f32_e32 v21, v5, v21
	v_dual_mul_f32 v87, v66, v27 :: v_dual_sub_f32 v20, v4, v20
	v_fma_f32 v2, v2, 2.0, -v18
	v_fma_f32 v14, v14, 2.0, -v25
	s_delay_alu instid0(VALU_DEP_3) | instskip(NEXT) | instid1(VALU_DEP_1)
	v_fma_f32 v4, v4, 2.0, -v20
	v_dual_mul_f32 v23, v61, v23 :: v_dual_sub_f32 v4, v28, v4
	s_delay_alu instid0(VALU_DEP_1) | instskip(SKIP_2) | instid1(VALU_DEP_4)
	v_fmac_f32_e32 v23, v62, v22
	v_fma_f32 v22, v63, v24, -v86
	v_fma_f32 v24, v65, v26, -v87
	v_fma_f32 v28, v28, 2.0, -v4
	s_delay_alu instid0(VALU_DEP_3) | instskip(NEXT) | instid1(VALU_DEP_3)
	v_sub_f32_e32 v22, v6, v22
	v_sub_f32_e32 v24, v8, v24
	s_delay_alu instid0(VALU_DEP_2) | instskip(NEXT) | instid1(VALU_DEP_2)
	v_fma_f32 v6, v6, 2.0, -v22
	v_fma_f32 v8, v8, 2.0, -v24
	v_mul_f32_e32 v27, v65, v27
	v_mul_f32_e32 v59, v67, v59
	v_add_f32_e32 v24, v19, v24
	v_sub_f32_e32 v6, v30, v6
	s_delay_alu instid0(VALU_DEP_4) | instskip(SKIP_2) | instid1(VALU_DEP_4)
	v_dual_sub_f32 v8, v0, v8 :: v_dual_fmac_f32 v27, v66, v26
	v_fma_f32 v26, v67, v58, -v88
	v_fmac_f32_e32 v59, v68, v58
	v_fma_f32 v30, v30, 2.0, -v6
	s_delay_alu instid0(VALU_DEP_4) | instskip(NEXT) | instid1(VALU_DEP_4)
	v_fma_f32 v0, v0, 2.0, -v8
	v_dual_sub_f32 v27, v11, v27 :: v_dual_sub_f32 v26, v10, v26
	s_delay_alu instid0(VALU_DEP_1) | instskip(NEXT) | instid1(VALU_DEP_2)
	v_fma_f32 v11, v11, 2.0, -v27
	v_fma_f32 v10, v10, 2.0, -v26
	v_dual_add_f32 v26, v21, v26 :: v_dual_sub_f32 v27, v16, v27
	s_delay_alu instid0(VALU_DEP_2) | instskip(SKIP_1) | instid1(VALU_DEP_3)
	v_sub_f32_e32 v10, v2, v10
	v_fma_f32 v1, v1, 2.0, -v17
	v_fma_f32 v16, v16, 2.0, -v27
	s_delay_alu instid0(VALU_DEP_2) | instskip(NEXT) | instid1(VALU_DEP_1)
	v_sub_f32_e32 v9, v1, v9
	v_fma_f32 v42, v1, 2.0, -v9
	v_fma_f32 v1, v2, 2.0, -v10
	s_delay_alu instid0(VALU_DEP_1) | instskip(SKIP_1) | instid1(VALU_DEP_1)
	v_dual_add_f32 v47, v9, v10 :: v_dual_sub_f32 v10, v30, v1
	v_sub_f32_e32 v31, v13, v59
	v_fma_f32 v13, v13, 2.0, -v31
	v_sub_f32_e32 v31, v18, v31
	s_delay_alu instid0(VALU_DEP_1) | instskip(SKIP_2) | instid1(VALU_DEP_3)
	v_fmamk_f32 v34, v31, 0x3f3504f3, v25
	v_add_f32_e32 v22, v17, v22
	v_fma_f32 v18, v18, 2.0, -v31
	v_dual_fmac_f32 v34, 0xbf3504f3, v26 :: v_dual_sub_f32 v23, v7, v23
	s_delay_alu instid0(VALU_DEP_3) | instskip(SKIP_1) | instid1(VALU_DEP_3)
	v_fma_f32 v17, v17, 2.0, -v22
	v_fmamk_f32 v35, v26, 0x3f3504f3, v22
	v_fma_f32 v7, v7, 2.0, -v23
	v_sub_f32_e32 v23, v12, v23
	s_delay_alu instid0(VALU_DEP_3) | instskip(NEXT) | instid1(VALU_DEP_2)
	v_fmac_f32_e32 v35, 0x3f3504f3, v31
	v_fmamk_f32 v32, v27, 0x3f3504f3, v23
	v_fma_f32 v29, v29, 2.0, -v15
	v_add_f32_e32 v20, v15, v20
	v_fma_f32 v12, v12, 2.0, -v23
	s_delay_alu instid0(VALU_DEP_4)
	v_fmac_f32_e32 v32, 0xbf3504f3, v24
	v_fma_f32 v5, v5, 2.0, -v21
	v_sub_f32_e32 v7, v29, v7
	v_fma_f32 v15, v15, 2.0, -v20
	v_fmamk_f32 v43, v16, 0xbf3504f3, v12
	v_fma_f32 v23, v23, 2.0, -v32
	s_delay_alu instid0(VALU_DEP_4) | instskip(SKIP_3) | instid1(VALU_DEP_4)
	v_dual_sub_f32 v13, v5, v13 :: v_dual_add_f32 v46, v7, v8
	v_fma_f32 v3, v3, 2.0, -v19
	v_fma_f32 v19, v19, 2.0, -v24
	v_fmamk_f32 v33, v24, 0x3f3504f3, v20
	v_fma_f32 v2, v5, 2.0, -v13
	v_sub_f32_e32 v13, v6, v13
	v_sub_f32_e32 v11, v3, v11
	v_fmamk_f32 v44, v19, 0xbf3504f3, v15
	v_fmac_f32_e32 v43, 0xbf3504f3, v19
	v_fma_f32 v19, v25, 2.0, -v34
	v_fma_f32 v29, v29, 2.0, -v7
	;; [unrolled: 1-line block ×3, first 2 shown]
	v_fmac_f32_e32 v44, 0x3f3504f3, v16
	v_fma_f32 v16, v6, 2.0, -v13
	v_fmamk_f32 v6, v19, 0xbec3ef15, v23
	v_fma_f32 v21, v21, 2.0, -v26
	v_fmac_f32_e32 v33, 0x3f3504f3, v27
	v_dual_fmamk_f32 v24, v18, 0xbf3504f3, v14 :: v_dual_sub_f32 v45, v4, v11
	s_delay_alu instid0(VALU_DEP_3) | instskip(SKIP_1) | instid1(VALU_DEP_3)
	v_dual_sub_f32 v26, v28, v0 :: v_dual_fmamk_f32 v27, v21, 0xbf3504f3, v17
	v_dual_sub_f32 v31, v29, v3 :: v_dual_sub_f32 v8, v42, v2
	v_fmac_f32_e32 v24, 0xbf3504f3, v21
	s_delay_alu instid0(VALU_DEP_4) | instskip(NEXT) | instid1(VALU_DEP_4)
	v_fma_f32 v48, v4, 2.0, -v45
	v_fmac_f32_e32 v27, 0x3f3504f3, v18
	v_fma_f32 v49, v7, 2.0, -v46
	v_fma_f32 v50, v20, 2.0, -v33
	;; [unrolled: 1-line block ×4, first 2 shown]
	v_dual_fmamk_f32 v0, v13, 0x3f3504f3, v45 :: v_dual_fmamk_f32 v1, v47, 0x3f3504f3, v46
	v_dual_fmamk_f32 v2, v34, 0x3f6c835e, v32 :: v_dual_fmamk_f32 v3, v35, 0x3f6c835e, v33
	v_fma_f32 v22, v28, 2.0, -v26
	v_fma_f32 v25, v29, 2.0, -v31
	;; [unrolled: 1-line block ×8, first 2 shown]
	v_dual_fmamk_f32 v4, v16, 0xbf3504f3, v48 :: v_dual_fmamk_f32 v5, v18, 0xbf3504f3, v49
	v_fmamk_f32 v7, v20, 0xbec3ef15, v50
	v_dual_add_f32 v9, v31, v10 :: v_dual_fmamk_f32 v10, v24, 0x3ec3ef15, v43
	s_delay_alu instid0(VALU_DEP_3)
	v_fmac_f32_e32 v4, 0xbf3504f3, v18
	v_fmamk_f32 v11, v27, 0x3ec3ef15, v44
	v_fmac_f32_e32 v0, 0xbf3504f3, v47
	v_fmac_f32_e32 v1, 0x3f3504f3, v13
	;; [unrolled: 1-line block ×4, first 2 shown]
	v_dual_sub_f32 v13, v25, v15 :: v_dual_fmamk_f32 v14, v30, 0xbf6c835e, v28
	v_fmamk_f32 v15, v42, 0xbf6c835e, v29
	v_sub_f32_e32 v12, v22, v12
	v_fmac_f32_e32 v5, 0x3f3504f3, v16
	v_fmac_f32_e32 v6, 0xbf6c835e, v20
	v_dual_fmac_f32 v7, 0x3f6c835e, v19 :: v_dual_sub_f32 v8, v26, v8
	v_fmac_f32_e32 v10, 0xbf6c835e, v27
	v_fmac_f32_e32 v11, 0x3f6c835e, v24
	v_fma_f32 v18, v45, 2.0, -v0
	v_fma_f32 v19, v46, 2.0, -v1
	;; [unrolled: 1-line block ×4, first 2 shown]
	v_fmac_f32_e32 v14, 0xbec3ef15, v42
	v_fmac_f32_e32 v15, 0x3ec3ef15, v30
	ds_store_2addr_b64 v73, v[0:1], v[2:3] offset0:96 offset1:176
	v_fma_f32 v0, v22, 2.0, -v12
	v_fma_f32 v2, v48, 2.0, -v4
	;; [unrolled: 1-line block ×10, first 2 shown]
	ds_store_2addr_b64 v69, v[18:19], v[20:21] offset0:96 offset1:176
	ds_store_2addr_b64 v71, v[4:5], v[6:7] offset0:32 offset1:112
	v_fma_f32 v4, v28, 2.0, -v14
	v_fma_f32 v5, v29, 2.0, -v15
	ds_store_2addr_b64 v72, v[8:9], v[10:11] offset0:64 offset1:144
	ds_store_2addr_b64 v60, v[2:3], v[22:23] offset0:160 offset1:240
	;; [unrolled: 1-line block ×4, first 2 shown]
	ds_store_2addr_b64 v60, v[0:1], v[4:5] offset1:80
	global_wb scope:SCOPE_SE
	s_wait_dscnt 0x0
	s_barrier_signal -1
	s_barrier_wait -1
	global_inv scope:SCOPE_SE
	s_and_saveexec_b32 s0, vcc_lo
	s_cbranch_execz .LBB0_25
; %bb.24:
	v_mul_lo_u32 v0, s3, v40
	v_mul_lo_u32 v1, s2, v41
	v_mad_co_u64_u32 v[4:5], null, s2, v40, 0
	v_dual_mov_b32 v39, 0 :: v_dual_add_nc_u32 v10, 0x50, v38
	v_lshl_add_u32 v28, v38, 3, 0
	v_lshlrev_b64_e32 v[8:9], 3, v[36:37]
	s_delay_alu instid0(VALU_DEP_3)
	v_dual_mov_b32 v11, v39 :: v_dual_add_nc_u32 v12, 0xa0, v38
	v_add3_u32 v5, v5, v1, v0
	ds_load_2addr_b64 v[0:3], v28 offset1:80
	v_lshlrev_b64_e32 v[16:17], 3, v[38:39]
	v_mov_b32_e32 v13, v39
	v_lshlrev_b64_e32 v[10:11], 3, v[10:11]
	v_lshlrev_b64_e32 v[14:15], 3, v[4:5]
	ds_load_2addr_b64 v[4:7], v28 offset0:160 offset1:240
	v_add_nc_u32_e32 v20, 0x1000, v28
	v_add_nc_u32_e32 v26, 0x460, v38
	v_dual_mov_b32 v19, v39 :: v_dual_add_nc_u32 v18, 0x800, v28
	v_add_co_u32 v14, vcc_lo, s6, v14
	s_wait_alu 0xfffd
	v_add_co_ci_u32_e32 v15, vcc_lo, s7, v15, vcc_lo
	v_mov_b32_e32 v27, v39
	s_delay_alu instid0(VALU_DEP_3) | instskip(SKIP_1) | instid1(VALU_DEP_3)
	v_add_co_u32 v32, vcc_lo, v14, v8
	s_wait_alu 0xfffd
	v_add_co_ci_u32_e32 v33, vcc_lo, v15, v9, vcc_lo
	v_dual_mov_b32 v15, v39 :: v_dual_add_nc_u32 v14, 0xf0, v38
	v_lshlrev_b64_e32 v[8:9], 3, v[12:13]
	v_add_co_u32 v12, vcc_lo, v32, v16
	v_add_nc_u32_e32 v16, 0x140, v38
	s_wait_alu 0xfffd
	v_add_co_ci_u32_e32 v13, vcc_lo, v33, v17, vcc_lo
	v_add_co_u32 v10, vcc_lo, v32, v10
	v_lshlrev_b64_e32 v[14:15], 3, v[14:15]
	s_wait_alu 0xfffd
	v_add_co_ci_u32_e32 v11, vcc_lo, v33, v11, vcc_lo
	v_add_co_u32 v8, vcc_lo, v32, v8
	s_wait_alu 0xfffd
	v_add_co_ci_u32_e32 v9, vcc_lo, v33, v9, vcc_lo
	v_mov_b32_e32 v17, v39
	v_add_co_u32 v14, vcc_lo, v32, v14
	s_wait_alu 0xfffd
	v_add_co_ci_u32_e32 v15, vcc_lo, v33, v15, vcc_lo
	s_wait_dscnt 0x1
	s_clause 0x1
	global_store_b64 v[12:13], v[0:1], off
	global_store_b64 v[10:11], v[2:3], off
	s_wait_dscnt 0x0
	s_clause 0x1
	global_store_b64 v[8:9], v[4:5], off
	global_store_b64 v[14:15], v[6:7], off
	v_lshlrev_b64_e32 v[4:5], 3, v[16:17]
	v_dual_mov_b32 v7, v39 :: v_dual_add_nc_u32 v6, 0x190, v38
	v_dual_mov_b32 v15, v39 :: v_dual_add_nc_u32 v14, 0xc00, v28
	ds_load_2addr_b64 v[0:3], v18 offset0:64 offset1:144
	v_add_co_u32 v10, vcc_lo, v32, v4
	v_dual_mov_b32 v9, v39 :: v_dual_add_nc_u32 v8, 0x1e0, v38
	s_wait_alu 0xfffd
	v_add_co_ci_u32_e32 v11, vcc_lo, v33, v5, vcc_lo
	v_lshlrev_b64_e32 v[12:13], 3, v[6:7]
	ds_load_2addr_b64 v[4:7], v14 offset0:96 offset1:176
	v_add_nc_u32_e32 v14, 0x230, v38
	v_lshlrev_b64_e32 v[8:9], 3, v[8:9]
	v_add_nc_u32_e32 v16, 0x280, v38
	v_add_nc_u32_e32 v18, 0x2d0, v38
	v_add_co_u32 v12, vcc_lo, v32, v12
	v_lshlrev_b64_e32 v[14:15], 3, v[14:15]
	s_wait_alu 0xfffd
	v_add_co_ci_u32_e32 v13, vcc_lo, v33, v13, vcc_lo
	v_add_co_u32 v8, vcc_lo, v32, v8
	s_wait_alu 0xfffd
	v_add_co_ci_u32_e32 v9, vcc_lo, v33, v9, vcc_lo
	v_add_co_u32 v14, vcc_lo, v32, v14
	s_wait_alu 0xfffd
	v_add_co_ci_u32_e32 v15, vcc_lo, v33, v15, vcc_lo
	s_wait_dscnt 0x1
	s_clause 0x1
	global_store_b64 v[10:11], v[0:1], off
	global_store_b64 v[12:13], v[2:3], off
	s_wait_dscnt 0x0
	s_clause 0x1
	global_store_b64 v[8:9], v[4:5], off
	global_store_b64 v[14:15], v[6:7], off
	v_mov_b32_e32 v13, v39
	v_mov_b32_e32 v9, v39
	v_lshlrev_b64_e32 v[4:5], 3, v[16:17]
	v_dual_mov_b32 v15, v39 :: v_dual_add_nc_u32 v8, 0x320, v38
	v_lshlrev_b64_e32 v[6:7], 3, v[18:19]
	v_dual_mov_b32 v11, v39 :: v_dual_add_nc_u32 v10, 0x370, v38
	s_delay_alu instid0(VALU_DEP_4) | instskip(NEXT) | instid1(VALU_DEP_4)
	v_add_co_u32 v16, vcc_lo, v32, v4
	v_lshlrev_b64_e32 v[8:9], 3, v[8:9]
	s_wait_alu 0xfffd
	v_add_co_ci_u32_e32 v17, vcc_lo, v33, v5, vcc_lo
	v_add_co_u32 v18, vcc_lo, v32, v6
	s_wait_alu 0xfffd
	v_add_co_ci_u32_e32 v19, vcc_lo, v33, v7, vcc_lo
	ds_load_2addr_b64 v[0:3], v20 offset0:128 offset1:208
	v_add_co_u32 v20, vcc_lo, v32, v8
	v_add_nc_u32_e32 v12, 0x3c0, v38
	s_wait_alu 0xfffd
	v_add_co_ci_u32_e32 v21, vcc_lo, v33, v9, vcc_lo
	v_lshlrev_b64_e32 v[8:9], 3, v[10:11]
	v_add_nc_u32_e32 v14, 0x410, v38
	v_add_nc_u32_e32 v4, 0x1800, v28
	v_lshlrev_b64_e32 v[12:13], 3, v[12:13]
	v_add_nc_u32_e32 v10, 0x1c00, v28
	v_add_nc_u32_e32 v38, 0x4b0, v38
	v_add_co_u32 v22, vcc_lo, v32, v8
	v_lshlrev_b64_e32 v[24:25], 3, v[14:15]
	v_add_nc_u32_e32 v14, 0x2000, v28
	ds_load_2addr_b64 v[4:7], v4 offset0:32 offset1:112
	s_wait_alu 0xfffd
	v_add_co_ci_u32_e32 v23, vcc_lo, v33, v9, vcc_lo
	ds_load_2addr_b64 v[8:11], v10 offset0:64 offset1:144
	v_add_co_u32 v28, vcc_lo, v32, v12
	s_wait_alu 0xfffd
	v_add_co_ci_u32_e32 v29, vcc_lo, v33, v13, vcc_lo
	ds_load_2addr_b64 v[12:15], v14 offset0:96 offset1:176
	v_lshlrev_b64_e32 v[26:27], 3, v[26:27]
	v_add_co_u32 v24, vcc_lo, v32, v24
	v_lshlrev_b64_e32 v[30:31], 3, v[38:39]
	s_wait_alu 0xfffd
	v_add_co_ci_u32_e32 v25, vcc_lo, v33, v25, vcc_lo
	s_delay_alu instid0(VALU_DEP_4)
	v_add_co_u32 v26, vcc_lo, v32, v26
	s_wait_alu 0xfffd
	v_add_co_ci_u32_e32 v27, vcc_lo, v33, v27, vcc_lo
	v_add_co_u32 v30, vcc_lo, v32, v30
	s_wait_alu 0xfffd
	v_add_co_ci_u32_e32 v31, vcc_lo, v33, v31, vcc_lo
	s_wait_dscnt 0x3
	s_clause 0x1
	global_store_b64 v[16:17], v[0:1], off
	global_store_b64 v[18:19], v[2:3], off
	s_wait_dscnt 0x2
	s_clause 0x1
	global_store_b64 v[20:21], v[4:5], off
	global_store_b64 v[22:23], v[6:7], off
	;; [unrolled: 4-line block ×4, first 2 shown]
.LBB0_25:
	s_nop 0
	s_sendmsg sendmsg(MSG_DEALLOC_VGPRS)
	s_endpgm
	.section	.rodata,"a",@progbits
	.p2align	6, 0x0
	.amdhsa_kernel fft_rtc_fwd_len1280_factors_16_5_16_wgs_80_tpt_80_halfLds_sp_op_CI_CI_unitstride_sbrr_C2R_dirReg
		.amdhsa_group_segment_fixed_size 0
		.amdhsa_private_segment_fixed_size 0
		.amdhsa_kernarg_size 104
		.amdhsa_user_sgpr_count 2
		.amdhsa_user_sgpr_dispatch_ptr 0
		.amdhsa_user_sgpr_queue_ptr 0
		.amdhsa_user_sgpr_kernarg_segment_ptr 1
		.amdhsa_user_sgpr_dispatch_id 0
		.amdhsa_user_sgpr_private_segment_size 0
		.amdhsa_wavefront_size32 1
		.amdhsa_uses_dynamic_stack 0
		.amdhsa_enable_private_segment 0
		.amdhsa_system_sgpr_workgroup_id_x 1
		.amdhsa_system_sgpr_workgroup_id_y 0
		.amdhsa_system_sgpr_workgroup_id_z 0
		.amdhsa_system_sgpr_workgroup_info 0
		.amdhsa_system_vgpr_workitem_id 0
		.amdhsa_next_free_vgpr 104
		.amdhsa_next_free_sgpr 39
		.amdhsa_reserve_vcc 1
		.amdhsa_float_round_mode_32 0
		.amdhsa_float_round_mode_16_64 0
		.amdhsa_float_denorm_mode_32 3
		.amdhsa_float_denorm_mode_16_64 3
		.amdhsa_fp16_overflow 0
		.amdhsa_workgroup_processor_mode 1
		.amdhsa_memory_ordered 1
		.amdhsa_forward_progress 0
		.amdhsa_round_robin_scheduling 0
		.amdhsa_exception_fp_ieee_invalid_op 0
		.amdhsa_exception_fp_denorm_src 0
		.amdhsa_exception_fp_ieee_div_zero 0
		.amdhsa_exception_fp_ieee_overflow 0
		.amdhsa_exception_fp_ieee_underflow 0
		.amdhsa_exception_fp_ieee_inexact 0
		.amdhsa_exception_int_div_zero 0
	.end_amdhsa_kernel
	.text
.Lfunc_end0:
	.size	fft_rtc_fwd_len1280_factors_16_5_16_wgs_80_tpt_80_halfLds_sp_op_CI_CI_unitstride_sbrr_C2R_dirReg, .Lfunc_end0-fft_rtc_fwd_len1280_factors_16_5_16_wgs_80_tpt_80_halfLds_sp_op_CI_CI_unitstride_sbrr_C2R_dirReg
                                        ; -- End function
	.section	.AMDGPU.csdata,"",@progbits
; Kernel info:
; codeLenInByte = 9536
; NumSgprs: 41
; NumVgprs: 104
; ScratchSize: 0
; MemoryBound: 0
; FloatMode: 240
; IeeeMode: 1
; LDSByteSize: 0 bytes/workgroup (compile time only)
; SGPRBlocks: 5
; VGPRBlocks: 12
; NumSGPRsForWavesPerEU: 41
; NumVGPRsForWavesPerEU: 104
; Occupancy: 12
; WaveLimiterHint : 1
; COMPUTE_PGM_RSRC2:SCRATCH_EN: 0
; COMPUTE_PGM_RSRC2:USER_SGPR: 2
; COMPUTE_PGM_RSRC2:TRAP_HANDLER: 0
; COMPUTE_PGM_RSRC2:TGID_X_EN: 1
; COMPUTE_PGM_RSRC2:TGID_Y_EN: 0
; COMPUTE_PGM_RSRC2:TGID_Z_EN: 0
; COMPUTE_PGM_RSRC2:TIDIG_COMP_CNT: 0
	.text
	.p2alignl 7, 3214868480
	.fill 96, 4, 3214868480
	.type	__hip_cuid_39a0abfc44d2fa91,@object ; @__hip_cuid_39a0abfc44d2fa91
	.section	.bss,"aw",@nobits
	.globl	__hip_cuid_39a0abfc44d2fa91
__hip_cuid_39a0abfc44d2fa91:
	.byte	0                               ; 0x0
	.size	__hip_cuid_39a0abfc44d2fa91, 1

	.ident	"AMD clang version 19.0.0git (https://github.com/RadeonOpenCompute/llvm-project roc-6.4.0 25133 c7fe45cf4b819c5991fe208aaa96edf142730f1d)"
	.section	".note.GNU-stack","",@progbits
	.addrsig
	.addrsig_sym __hip_cuid_39a0abfc44d2fa91
	.amdgpu_metadata
---
amdhsa.kernels:
  - .args:
      - .actual_access:  read_only
        .address_space:  global
        .offset:         0
        .size:           8
        .value_kind:     global_buffer
      - .offset:         8
        .size:           8
        .value_kind:     by_value
      - .actual_access:  read_only
        .address_space:  global
        .offset:         16
        .size:           8
        .value_kind:     global_buffer
      - .actual_access:  read_only
        .address_space:  global
        .offset:         24
        .size:           8
        .value_kind:     global_buffer
      - .actual_access:  read_only
        .address_space:  global
        .offset:         32
        .size:           8
        .value_kind:     global_buffer
      - .offset:         40
        .size:           8
        .value_kind:     by_value
      - .actual_access:  read_only
        .address_space:  global
        .offset:         48
        .size:           8
        .value_kind:     global_buffer
      - .actual_access:  read_only
        .address_space:  global
        .offset:         56
        .size:           8
        .value_kind:     global_buffer
      - .offset:         64
        .size:           4
        .value_kind:     by_value
      - .actual_access:  read_only
        .address_space:  global
        .offset:         72
        .size:           8
        .value_kind:     global_buffer
      - .actual_access:  read_only
        .address_space:  global
        .offset:         80
        .size:           8
        .value_kind:     global_buffer
      - .actual_access:  read_only
        .address_space:  global
        .offset:         88
        .size:           8
        .value_kind:     global_buffer
      - .actual_access:  write_only
        .address_space:  global
        .offset:         96
        .size:           8
        .value_kind:     global_buffer
    .group_segment_fixed_size: 0
    .kernarg_segment_align: 8
    .kernarg_segment_size: 104
    .language:       OpenCL C
    .language_version:
      - 2
      - 0
    .max_flat_workgroup_size: 80
    .name:           fft_rtc_fwd_len1280_factors_16_5_16_wgs_80_tpt_80_halfLds_sp_op_CI_CI_unitstride_sbrr_C2R_dirReg
    .private_segment_fixed_size: 0
    .sgpr_count:     41
    .sgpr_spill_count: 0
    .symbol:         fft_rtc_fwd_len1280_factors_16_5_16_wgs_80_tpt_80_halfLds_sp_op_CI_CI_unitstride_sbrr_C2R_dirReg.kd
    .uniform_work_group_size: 1
    .uses_dynamic_stack: false
    .vgpr_count:     104
    .vgpr_spill_count: 0
    .wavefront_size: 32
    .workgroup_processor_mode: 1
amdhsa.target:   amdgcn-amd-amdhsa--gfx1201
amdhsa.version:
  - 1
  - 2
...

	.end_amdgpu_metadata
